;; amdgpu-corpus repo=ROCm/rocFFT kind=compiled arch=gfx1030 opt=O3
	.text
	.amdgcn_target "amdgcn-amd-amdhsa--gfx1030"
	.amdhsa_code_object_version 6
	.protected	fft_rtc_fwd_len96_factors_4_2_3_4_wgs_192_tpt_8_dim2_sp_ip_CI_sbcc_twdbase8_2step_dirReg_intrinsicReadWrite ; -- Begin function fft_rtc_fwd_len96_factors_4_2_3_4_wgs_192_tpt_8_dim2_sp_ip_CI_sbcc_twdbase8_2step_dirReg_intrinsicReadWrite
	.globl	fft_rtc_fwd_len96_factors_4_2_3_4_wgs_192_tpt_8_dim2_sp_ip_CI_sbcc_twdbase8_2step_dirReg_intrinsicReadWrite
	.p2align	8
	.type	fft_rtc_fwd_len96_factors_4_2_3_4_wgs_192_tpt_8_dim2_sp_ip_CI_sbcc_twdbase8_2step_dirReg_intrinsicReadWrite,@function
fft_rtc_fwd_len96_factors_4_2_3_4_wgs_192_tpt_8_dim2_sp_ip_CI_sbcc_twdbase8_2step_dirReg_intrinsicReadWrite: ; @fft_rtc_fwd_len96_factors_4_2_3_4_wgs_192_tpt_8_dim2_sp_ip_CI_sbcc_twdbase8_2step_dirReg_intrinsicReadWrite
; %bb.0:
	s_load_dwordx4 s[0:3], s[4:5], 0x10
	s_waitcnt lgkmcnt(0)
	s_load_dwordx2 s[10:11], s[0:1], 0x8
	s_waitcnt lgkmcnt(0)
	s_add_u32 s0, s10, -1
	s_addc_u32 s1, s11, -1
	s_add_u32 s7, 0, 0xaaaa0000
	s_addc_u32 s8, 0, 42
	s_mul_hi_u32 s12, s7, 0xffffffe8
	s_add_i32 s8, s8, 0xaaaaa80
	s_sub_i32 s12, s12, s7
	s_mul_i32 s14, s8, 0xffffffe8
	s_mul_i32 s9, s7, 0xffffffe8
	s_add_i32 s12, s12, s14
	s_mul_hi_u32 s13, s7, s9
	s_mul_i32 s16, s7, s12
	s_mul_hi_u32 s14, s7, s12
	s_mul_hi_u32 s15, s8, s9
	s_mul_i32 s9, s8, s9
	s_add_u32 s13, s13, s16
	s_addc_u32 s14, 0, s14
	s_mul_hi_u32 s17, s8, s12
	s_add_u32 s9, s13, s9
	s_mul_i32 s12, s8, s12
	s_addc_u32 s9, s14, s15
	s_addc_u32 s13, s17, 0
	s_add_u32 s9, s9, s12
	v_add_co_u32 v1, s7, s7, s9
	s_addc_u32 s9, 0, s13
	s_cmp_lg_u32 s7, 0
	s_addc_u32 s7, s8, s9
	v_readfirstlane_b32 s8, v1
	s_mul_i32 s12, s0, s7
	s_mul_hi_u32 s9, s0, s7
	s_mul_hi_u32 s13, s1, s7
	s_mul_i32 s7, s1, s7
	s_mul_hi_u32 s14, s0, s8
	s_mul_hi_u32 s15, s1, s8
	s_mul_i32 s8, s1, s8
	s_add_u32 s12, s14, s12
	s_addc_u32 s9, 0, s9
	s_add_u32 s8, s12, s8
	s_addc_u32 s8, s9, s15
	s_addc_u32 s9, s13, 0
	s_add_u32 s16, s8, s7
	s_addc_u32 s17, 0, s9
	s_mul_i32 s8, s16, 24
	s_add_u32 s7, s16, 1
	v_sub_co_u32 v1, s0, s0, s8
	s_mul_hi_u32 s8, s16, 24
	s_addc_u32 s9, s17, 0
	s_mul_i32 s12, s17, 24
	v_sub_co_u32 v2, s13, v1, 24
	s_add_u32 s18, s16, 2
	s_addc_u32 s19, s17, 0
	s_add_i32 s8, s8, s12
	s_cmp_lg_u32 s0, 0
	v_readfirstlane_b32 s0, v2
	s_subb_u32 s1, s1, s8
	s_cmp_lg_u32 s13, 0
	s_load_dwordx2 s[14:15], s[4:5], 0x0
	s_subb_u32 s8, s1, 0
	s_cmp_gt_u32 s0, 23
	s_load_dwordx2 s[12:13], s[2:3], 0x0
	s_cselect_b32 s0, -1, 0
	s_cmp_eq_u32 s8, 0
	v_readfirstlane_b32 s8, v1
	s_cselect_b32 s0, s0, -1
	s_cmp_lg_u32 s0, 0
	s_cselect_b32 s0, s18, s7
	s_cselect_b32 s18, s19, s9
	s_cmp_gt_u32 s8, 23
	s_load_dwordx2 s[8:9], s[4:5], 0x50
	s_cselect_b32 s7, -1, 0
	s_cmp_eq_u32 s1, 0
	s_cselect_b32 s1, s7, -1
	s_mov_b32 s7, 0
	s_cmp_lg_u32 s1, 0
	s_cselect_b32 s0, s0, s16
	s_cselect_b32 s1, s18, s17
	s_add_u32 s18, s0, 1
	s_addc_u32 s19, s1, 0
	s_mov_b64 s[16:17], 0
	v_cmp_lt_u64_e64 s0, s[6:7], s[18:19]
	s_and_b32 vcc_lo, exec_lo, s0
	s_cbranch_vccnz .LBB0_2
; %bb.1:
	v_cvt_f32_u32_e32 v1, s18
	s_sub_i32 s1, 0, s18
	v_rcp_iflag_f32_e32 v1, v1
	v_mul_f32_e32 v1, 0x4f7ffffe, v1
	v_cvt_u32_f32_e32 v1, v1
	v_readfirstlane_b32 s0, v1
	s_mul_i32 s1, s1, s0
	s_mul_hi_u32 s1, s0, s1
	s_add_i32 s0, s0, s1
	s_mul_hi_u32 s0, s6, s0
	s_mul_i32 s1, s0, s18
	s_add_i32 s7, s0, 1
	s_sub_i32 s1, s6, s1
	s_waitcnt lgkmcnt(0)
	s_sub_i32 s13, s1, s18
	s_cmp_ge_u32 s1, s18
	s_cselect_b32 s0, s7, s0
	s_cselect_b32 s1, s13, s1
	s_add_i32 s7, s0, 1
	s_cmp_ge_u32 s1, s18
	s_cselect_b32 s16, s7, s0
.LBB0_2:
	v_mul_u32_u24_e32 v8, 0xaab, v0
	s_load_dwordx4 s[0:3], s[2:3], 0x8
	s_waitcnt lgkmcnt(0)
	s_mul_i32 s1, s16, s19
	s_mul_hi_u32 s3, s16, s18
	s_mul_i32 s7, s16, s18
	v_lshrrev_b32_e32 v6, 16, v8
	s_add_i32 s3, s3, s1
	s_sub_u32 s1, s6, s7
	s_subb_u32 s3, 0, s3
	s_mul_hi_u32 s6, s1, 24
	v_mul_lo_u16 v1, v6, 24
	s_mul_i32 s1, s1, 24
	s_mul_i32 s3, s3, 24
	v_add_nc_u32_e32 v7, 24, v6
	v_or_b32_e32 v5, 48, v6
	v_sub_nc_u16 v1, v0, v1
	s_add_i32 s6, s6, s3
	v_add_nc_u32_e32 v10, 0x48, v6
	v_mul_lo_u32 v4, s12, v6
	v_mul_lo_u32 v11, s12, v7
	v_and_b32_e32 v9, 0xffff, v1
	s_mul_i32 s3, s1, s0
	s_mul_i32 s2, s2, s16
	v_mul_lo_u32 v5, s12, v5
	s_add_i32 s2, s2, s3
	v_mul_lo_u32 v3, s0, v9
	v_add_co_u32 v1, s0, s1, v9
	v_add_co_ci_u32_e64 v2, null, s6, 0, s0
	s_add_u32 s0, s1, 24
	s_addc_u32 s1, s6, 0
	v_mul_lo_u32 v10, s12, v10
	v_cmp_le_u64_e64 s0, s[0:1], s[10:11]
	v_cmp_gt_u64_e32 vcc_lo, s[10:11], v[1:2]
	v_add_nc_u32_e32 v2, 8, v6
	v_add_lshl_u32 v4, v3, v4, 3
	v_add_lshl_u32 v11, v3, v11, 3
	;; [unrolled: 1-line block ×3, first 2 shown]
	v_add_nc_u32_e32 v19, 56, v6
	v_mul_lo_u32 v12, s12, v2
	s_or_b32 vcc_lo, s0, vcc_lo
	v_add_lshl_u32 v10, v3, v10, 3
	v_cndmask_b32_e32 v4, -1, v4, vcc_lo
	v_cndmask_b32_e32 v13, -1, v11, vcc_lo
	;; [unrolled: 1-line block ×3, first 2 shown]
	s_lshl_b32 s2, s2, 3
	s_mov_b32 s11, 0x31014000
	s_mov_b32 s10, -2
	v_cndmask_b32_e32 v16, -1, v10, vcc_lo
	v_or_b32_e32 v34, 32, v6
	v_or_b32_e32 v20, 0x50, v6
	v_mul_lo_u32 v19, s12, v19
	v_or_b32_e32 v21, 64, v6
	v_add_lshl_u32 v18, v3, v12, 3
	s_clause 0x3
	buffer_load_dwordx2 v[10:11], v4, s[8:11], s2 offen
	buffer_load_dwordx2 v[12:13], v13, s[8:11], s2 offen
	;; [unrolled: 1-line block ×4, first 2 shown]
	v_or_b32_e32 v4, 16, v6
	v_add_nc_u32_e32 v35, 40, v6
	v_add_nc_u32_e32 v24, 0x58, v6
	v_mul_lo_u32 v5, s12, v34
	v_mul_lo_u32 v20, s12, v20
	;; [unrolled: 1-line block ×5, first 2 shown]
	v_add_lshl_u32 v19, v3, v19, 3
	v_mul_lo_u32 v24, s12, v24
	v_cndmask_b32_e32 v18, -1, v18, vcc_lo
	v_add_lshl_u32 v5, v3, v5, 3
	v_add_lshl_u32 v20, v3, v20, 3
	v_cndmask_b32_e32 v25, -1, v19, vcc_lo
	v_add_lshl_u32 v19, v3, v21, 3
	v_add_lshl_u32 v22, v3, v22, 3
	;; [unrolled: 1-line block ×4, first 2 shown]
	v_cndmask_b32_e32 v5, -1, v5, vcc_lo
	v_cndmask_b32_e32 v26, -1, v20, vcc_lo
	;; [unrolled: 1-line block ×5, first 2 shown]
	s_clause 0x2
	buffer_load_dwordx2 v[18:19], v18, s[8:11], s2 offen
	buffer_load_dwordx2 v[20:21], v5, s[8:11], s2 offen
	;; [unrolled: 1-line block ×3, first 2 shown]
	v_cndmask_b32_e32 v5, -1, v24, vcc_lo
	s_clause 0x4
	buffer_load_dwordx2 v[24:25], v26, s[8:11], s2 offen
	buffer_load_dwordx2 v[26:27], v27, s[8:11], s2 offen
	;; [unrolled: 1-line block ×5, first 2 shown]
	v_mul_u32_u24_e32 v5, 0x60, v6
	v_lshlrev_b32_e32 v9, 3, v9
	v_bfe_u32 v36, v8, 16, 2
	v_cmp_gt_u32_e64 s0, 0x240, v0
	v_lshlrev_b32_e32 v5, 3, v5
	v_lshlrev_b32_e32 v37, 3, v36
	v_add3_u32 v5, 0, v5, v9
	v_add_nc_u32_e32 v38, 0x1800, v5
	v_add_nc_u32_e32 v39, 0x3000, v5
	s_waitcnt vmcnt(9)
	v_sub_f32_e32 v40, v10, v14
	v_sub_f32_e32 v41, v11, v15
	s_waitcnt vmcnt(8)
	v_sub_f32_e32 v14, v12, v16
	v_sub_f32_e32 v15, v13, v17
	v_fma_f32 v42, v12, 2.0, -v14
	v_fma_f32 v43, v13, 2.0, -v15
	s_waitcnt vmcnt(4)
	v_sub_f32_e32 v16, v20, v24
	v_sub_f32_e32 v22, v18, v22
	;; [unrolled: 1-line block ×4, first 2 shown]
	s_waitcnt vmcnt(2)
	v_sub_f32_e32 v26, v28, v26
	v_sub_f32_e32 v27, v29, v27
	s_waitcnt vmcnt(0)
	v_sub_f32_e32 v24, v30, v32
	v_sub_f32_e32 v25, v31, v33
	v_fma_f32 v32, v10, 2.0, -v40
	v_fma_f32 v33, v11, 2.0, -v41
	;; [unrolled: 1-line block ×10, first 2 shown]
	v_sub_f32_e32 v10, v40, v15
	v_add_f32_e32 v11, v41, v14
	v_sub_f32_e32 v12, v22, v17
	v_add_f32_e32 v13, v23, v16
	v_sub_f32_e32 v16, v32, v42
	v_sub_f32_e32 v17, v33, v43
	;; [unrolled: 1-line block ×5, first 2 shown]
	v_add_f32_e32 v15, v27, v24
	v_sub_f32_e32 v24, v46, v28
	v_sub_f32_e32 v25, v47, v29
	v_fma_f32 v18, v40, 2.0, -v10
	v_fma_f32 v19, v41, 2.0, -v11
	;; [unrolled: 1-line block ×12, first 2 shown]
	ds_write2_b64 v5, v[16:17], v[10:11] offset0:48 offset1:72
	ds_write2_b64 v38, v[20:21], v[12:13] offset0:48 offset1:72
	;; [unrolled: 1-line block ×3, first 2 shown]
	ds_write2_b64 v5, v[28:29], v[18:19] offset1:24
	ds_write2_b64 v38, v[30:31], v[22:23] offset1:24
	ds_write2_b64 v39, v[32:33], v[26:27] offset1:24
	s_waitcnt lgkmcnt(0)
	s_barrier
	buffer_gl0_inv
	global_load_dwordx2 v[24:25], v37, s[14:15]
	v_lshrrev_b32_e32 v10, 15, v8
	v_lshlrev_b32_e32 v12, 1, v2
	v_lshlrev_b32_e32 v13, 1, v4
	;; [unrolled: 1-line block ×4, first 2 shown]
	v_and_or_b32 v10, v10, 24, v36
	v_lshlrev_b32_e32 v16, 1, v35
	v_and_or_b32 v12, v12, 56, v36
	v_and_or_b32 v13, v13, 56, v36
	;; [unrolled: 1-line block ×3, first 2 shown]
	v_mul_u32_u24_e32 v10, 0xc0, v10
	v_and_or_b32 v15, 0x58, v15, v36
	v_and_or_b32 v16, 0x78, v16, v36
	v_mul_u32_u24_e32 v12, 0xc0, v12
	v_mul_u32_u24_e32 v13, 0xc0, v13
	v_add3_u32 v40, 0, v10, v9
	v_mad_i32_i24 v10, 0xfffffdc0, v6, v5
	v_mul_u32_u24_e32 v14, 0xc0, v14
	v_mul_u32_u24_e32 v15, 0xc0, v15
	;; [unrolled: 1-line block ×3, first 2 shown]
	v_mul_i32_i24_e32 v11, 0xfffffdc0, v4
	ds_read2st64_b64 v[16:19], v10 offset0:21 offset1:24
	v_add3_u32 v41, 0, v12, v9
	v_add3_u32 v42, 0, v13, v9
	;; [unrolled: 1-line block ×4, first 2 shown]
	ds_read2st64_b64 v[12:15], v10 offset1:18
	v_mul_i32_i24_e32 v20, 0xfffffdc0, v2
	v_add3_u32 v11, 0x3000, v5, v11
	v_add3_u32 v45, 0, v21, v9
	v_bfe_u32 v38, v8, 16, 3
	v_lshrrev_b32_e32 v8, 19, v8
	v_add3_u32 v5, 0x1800, v5, v20
	ds_read2st64_b64 v[20:23], v10 offset0:27 offset1:30
	ds_read_b64 v[26:27], v11
	ds_read_b32 v46, v11 offset:1536
	ds_read_b32 v47, v11 offset:3072
	ds_read_b64 v[28:29], v11 offset:3072
	ds_read_b32 v48, v11 offset:1540
	ds_read_b64 v[30:31], v11 offset:1536
	ds_read_b64 v[32:33], v5
	ds_read_b64 v[34:35], v10 offset:16896
	ds_read_b32 v49, v11 offset:3076
	ds_read_b32 v50, v11 offset:4608
	;; [unrolled: 1-line block ×3, first 2 shown]
	ds_read_b64 v[36:37], v11 offset:4608
	s_waitcnt vmcnt(0) lgkmcnt(0)
	v_lshlrev_b32_e32 v39, 4, v38
	s_barrier
	buffer_gl0_inv
	v_mul_u32_u24_e32 v8, 24, v8
	v_or_b32_e32 v8, v8, v38
	v_mul_f32_e32 v54, v25, v17
	v_mul_f32_e32 v55, v25, v16
	;; [unrolled: 1-line block ×7, first 2 shown]
	v_fma_f32 v16, v24, v16, -v54
	v_mul_f32_e32 v54, v25, v20
	v_fmac_f32_e32 v55, v24, v17
	v_fma_f32 v18, v24, v18, -v56
	v_mul_f32_e32 v17, v25, v23
	v_mul_f32_e32 v56, v25, v22
	v_fmac_f32_e32 v57, v24, v19
	v_mul_f32_e32 v19, v25, v35
	v_mul_f32_e32 v35, v24, v35
	v_fma_f32 v14, v24, v14, -v52
	v_fmac_f32_e32 v53, v24, v15
	v_fma_f32 v20, v24, v20, -v58
	v_fmac_f32_e32 v54, v24, v21
	v_fma_f32 v22, v24, v22, -v17
	v_fmac_f32_e32 v56, v24, v23
	v_fma_f32 v24, v24, v34, -v19
	v_fmac_f32_e32 v35, v25, v34
	v_sub_f32_e32 v14, v12, v14
	v_sub_f32_e32 v15, v13, v53
	;; [unrolled: 1-line block ×12, first 2 shown]
	v_fma_f32 v12, v12, 2.0, -v14
	v_fma_f32 v13, v13, 2.0, -v15
	v_fma_f32 v28, v32, 2.0, -v16
	v_fma_f32 v29, v33, 2.0, -v17
	v_fma_f32 v26, v26, 2.0, -v18
	v_fma_f32 v27, v27, 2.0, -v19
	v_fma_f32 v30, v46, 2.0, -v20
	v_fma_f32 v31, v48, 2.0, -v21
	v_fma_f32 v32, v47, 2.0, -v22
	v_fma_f32 v33, v49, 2.0, -v23
	v_fma_f32 v34, v50, 2.0, -v24
	v_fma_f32 v35, v51, 2.0, -v25
	ds_write2_b64 v40, v[12:13], v[14:15] offset1:96
	ds_write2_b64 v41, v[28:29], v[16:17] offset1:96
	;; [unrolled: 1-line block ×6, first 2 shown]
	s_waitcnt lgkmcnt(0)
	s_barrier
	buffer_gl0_inv
	global_load_dwordx4 v[12:15], v39, s[14:15] offset:32
	v_subrev_nc_u32_e32 v16, 24, v6
	v_lshrrev_b32_e32 v20, 3, v7
	v_lshrrev_b32_e32 v18, 3, v2
	;; [unrolled: 1-line block ×3, first 2 shown]
	v_mul_lo_u16 v21, v4, 43
	v_cndmask_b32_e64 v7, v16, v6, s0
	v_mul_lo_u16 v6, v2, 43
	v_mul_u32_u24_e32 v22, 0xc0, v8
	v_mov_b32_e32 v17, 0
	v_mul_u32_u24_e32 v18, 24, v18
	v_mul_u32_u24_e32 v19, 24, v19
	v_lshrrev_b16 v8, 10, v6
	v_mul_u32_u24_e32 v20, 24, v20
	v_mul_i32_i24_e32 v16, 3, v7
	v_lshrrev_b16 v6, 10, v21
	v_or_b32_e32 v18, v18, v38
	v_mul_lo_u16 v21, v8, 24
	v_or_b32_e32 v19, v19, v38
	v_or_b32_e32 v20, v20, v38
	v_lshlrev_b64 v[24:25], 3, v[16:17]
	v_mul_lo_u16 v16, v6, 24
	v_sub_nc_u16 v17, v2, v21
	v_add3_u32 v42, 0, v22, v9
	v_mul_u32_u24_e32 v26, 0xc0, v18
	v_mul_u32_u24_e32 v28, 0xc0, v19
	;; [unrolled: 1-line block ×3, first 2 shown]
	v_sub_nc_u16 v43, v4, v16
	v_and_b32_e32 v54, 0xff, v17
	ds_read2st64_b64 v[16:19], v10 offset1:15
	ds_read_b64 v[32:33], v11 offset:3072
	ds_read2st64_b64 v[20:23], v10 offset0:24 offset1:27
	v_add_co_u32 v34, s0, s14, v24
	v_add_co_ci_u32_e64 v35, s0, s15, v25, s0
	v_add3_u32 v44, 0, v26, v9
	ds_read2st64_b64 v[24:27], v10 offset0:18 offset1:21
	v_add3_u32 v45, 0, v28, v9
	ds_read2st64_b64 v[28:31], v10 offset0:30 offset1:33
	v_mul_u32_u24_e32 v37, 3, v54
	v_add_nc_u32_e32 v40, 0x400, v11
	v_add3_u32 v9, 0, v36, v9
	s_load_dwordx2 s[0:1], s[4:5], 0x8
	v_and_b32_e32 v8, 0xffff, v8
	v_lshlrev_b32_e32 v46, 3, v37
	ds_read_b64 v[36:37], v5
	ds_read_b64 v[38:39], v11
	ds_read2_b32 v[40:41], v40 offset0:128 offset1:129
	s_waitcnt vmcnt(0) lgkmcnt(0)
	s_barrier
	buffer_gl0_inv
	v_mad_u32_u24 v2, 0x48, v8, v2
	v_and_b32_e32 v6, 0xffff, v6
	v_mad_u32_u24 v4, 0x48, v6, v4
	v_mul_f32_e32 v50, v15, v20
	v_mul_f32_e32 v53, v15, v23
	;; [unrolled: 1-line block ×11, first 2 shown]
	v_fmac_f32_e32 v50, v14, v21
	v_fma_f32 v21, v14, v22, -v53
	v_mul_f32_e32 v22, v15, v28
	v_fma_f32 v20, v14, v20, -v49
	v_fmac_f32_e32 v55, v14, v23
	v_mul_f32_e32 v23, v13, v27
	v_mul_f32_e32 v49, v13, v26
	;; [unrolled: 1-line block ×3, first 2 shown]
	v_fma_f32 v32, v12, v32, -v47
	v_fmac_f32_e32 v48, v12, v33
	v_mul_f32_e32 v33, v30, v15
	v_fma_f32 v15, v12, v18, -v51
	v_fmac_f32_e32 v52, v12, v19
	v_fma_f32 v18, v12, v24, -v56
	v_fmac_f32_e32 v57, v12, v25
	;; [unrolled: 2-line block ×5, first 2 shown]
	v_add_f32_e32 v12, v32, v20
	v_add_f32_e32 v13, v48, v50
	;; [unrolled: 1-line block ×3, first 2 shown]
	v_sub_f32_e32 v27, v32, v20
	v_add_f32_e32 v29, v15, v21
	v_add_f32_e32 v32, v52, v55
	;; [unrolled: 1-line block ×4, first 2 shown]
	v_sub_f32_e32 v25, v48, v50
	v_add_f32_e32 v26, v17, v48
	v_add_f32_e32 v48, v38, v18
	;; [unrolled: 1-line block ×3, first 2 shown]
	v_fma_f32 v12, -0.5, v12, v16
	v_fma_f32 v13, -0.5, v13, v17
	v_add_f32_e32 v59, v23, v24
	v_sub_f32_e32 v60, v49, v33
	v_add_f32_e32 v61, v41, v49
	v_add_f32_e32 v49, v49, v33
	;; [unrolled: 1-line block ×3, first 2 shown]
	v_sub_f32_e32 v30, v52, v55
	v_add_f32_e32 v31, v37, v52
	v_sub_f32_e32 v47, v15, v21
	v_add_f32_e32 v58, v40, v23
	v_fma_f32 v36, -0.5, v29, v36
	v_fmac_f32_e32 v37, -0.5, v32
	v_sub_f32_e32 v52, v57, v22
	v_sub_f32_e32 v57, v18, v19
	v_fma_f32 v38, -0.5, v51, v38
	v_fmac_f32_e32 v39, -0.5, v56
	v_sub_f32_e32 v62, v23, v24
	v_add_f32_e32 v14, v14, v20
	v_add_f32_e32 v15, v26, v50
	;; [unrolled: 1-line block ×4, first 2 shown]
	v_fma_f32 v40, -0.5, v59, v40
	v_fmac_f32_e32 v41, -0.5, v49
	v_fmamk_f32 v22, v25, 0x3f5db3d7, v12
	v_fmamk_f32 v23, v27, 0xbf5db3d7, v13
	v_fmac_f32_e32 v12, 0xbf5db3d7, v25
	v_fmac_f32_e32 v13, 0x3f5db3d7, v27
	v_add_f32_e32 v16, v28, v21
	v_add_f32_e32 v17, v31, v55
	;; [unrolled: 1-line block ×3, first 2 shown]
	v_fmamk_f32 v24, v30, 0x3f5db3d7, v36
	v_fmamk_f32 v25, v47, 0xbf5db3d7, v37
	v_fmac_f32_e32 v36, 0xbf5db3d7, v30
	v_fmac_f32_e32 v37, 0x3f5db3d7, v47
	v_fmamk_f32 v26, v52, 0x3f5db3d7, v38
	v_fmac_f32_e32 v38, 0xbf5db3d7, v52
	v_fmamk_f32 v27, v57, 0xbf5db3d7, v39
	v_fmac_f32_e32 v39, 0x3f5db3d7, v57
	v_add_f32_e32 v21, v61, v33
	v_fmamk_f32 v28, v60, 0x3f5db3d7, v40
	v_fmac_f32_e32 v40, 0xbf5db3d7, v60
	v_fmamk_f32 v29, v62, 0xbf5db3d7, v41
	v_fmac_f32_e32 v41, 0x3f5db3d7, v62
	ds_write2st64_b64 v42, v[14:15], v[22:23] offset1:3
	ds_write_b64 v42, v[12:13] offset:3072
	ds_write2st64_b64 v44, v[16:17], v[24:25] offset1:3
	ds_write_b64 v44, v[36:37] offset:3072
	;; [unrolled: 2-line block ×4, first 2 shown]
	s_waitcnt lgkmcnt(0)
	s_barrier
	buffer_gl0_inv
	s_clause 0x1
	global_load_dwordx2 v[36:37], v[34:35], off offset:176
	global_load_dwordx2 v[38:39], v46, s[14:15] offset:176
	v_and_b32_e32 v55, 0xff, v43
	global_load_dwordx4 v[12:15], v[34:35], off offset:160
	v_mul_lo_u32 v24, v1, v7
	v_add_nc_u32_e32 v25, 24, v7
	v_add_nc_u32_e32 v26, 48, v7
	v_mul_u32_u24_e32 v9, 3, v55
	v_mov_b32_e32 v56, 3
	v_mul_lo_u32 v25, v1, v25
	v_mul_lo_u32 v26, v1, v26
	v_lshlrev_b32_e32 v9, 3, v9
	s_clause 0x1
	global_load_dwordx4 v[16:19], v9, s[14:15] offset:160
	global_load_dwordx4 v[20:23], v46, s[14:15] offset:160
	v_bfe_u32 v27, v24, 8, 8
	global_load_dwordx2 v[40:41], v9, s[14:15] offset:176
	v_lshlrev_b32_sdwa v9, v56, v24 dst_sel:DWORD dst_unused:UNUSED_PAD src0_sel:DWORD src1_sel:BYTE_0
	v_bfe_u32 v28, v26, 8, 8
	v_lshl_or_b32 v24, v27, 3, 0x800
	v_bfe_u32 v27, v25, 8, 8
	s_clause 0x1
	global_load_dwordx2 v[42:43], v9, s[0:1]
	global_load_dwordx2 v[44:45], v24, s[0:1]
	v_lshlrev_b32_sdwa v9, v56, v25 dst_sel:DWORD dst_unused:UNUSED_PAD src0_sel:DWORD src1_sel:BYTE_0
	v_lshl_or_b32 v24, v27, 3, 0x800
	v_lshlrev_b32_sdwa v25, v56, v26 dst_sel:DWORD dst_unused:UNUSED_PAD src0_sel:DWORD src1_sel:BYTE_0
	v_lshl_or_b32 v26, v28, 3, 0x800
	s_clause 0x3
	global_load_dwordx2 v[46:47], v9, s[0:1]
	global_load_dwordx2 v[48:49], v24, s[0:1]
	;; [unrolled: 1-line block ×4, first 2 shown]
	ds_read2st64_b64 v[24:27], v10 offset0:27 offset1:30
	ds_read2st64_b64 v[28:31], v11 offset1:3
	ds_read2st64_b64 v[32:35], v10 offset0:15 offset1:18
	s_waitcnt vmcnt(11) lgkmcnt(2)
	v_mul_f32_e32 v9, v37, v25
	v_mul_f32_e32 v37, v37, v24
	s_waitcnt vmcnt(10)
	v_mul_f32_e32 v11, v27, v39
	v_mul_f32_e32 v39, v26, v39
	s_waitcnt vmcnt(9) lgkmcnt(0)
	v_mul_f32_e32 v58, v15, v34
	v_fma_f32 v57, v36, v24, -v9
	v_fmac_f32_e32 v37, v36, v25
	v_fma_f32 v36, v26, v38, -v11
	v_fmac_f32_e32 v39, v27, v38
	ds_read2st64_b64 v[24:27], v10 offset0:21 offset1:24
	v_mul_f32_e32 v9, v13, v31
	v_mul_f32_e32 v38, v13, v30
	;; [unrolled: 1-line block ×3, first 2 shown]
	v_fmac_f32_e32 v58, v14, v35
	v_add_nc_u32_e32 v15, 0x48, v7
	v_fma_f32 v30, v12, v30, -v9
	s_waitcnt vmcnt(8)
	v_mul_f32_e32 v9, v33, v17
	v_fmac_f32_e32 v38, v12, v31
	v_fma_f32 v31, v14, v34, -v11
	ds_read2st64_b64 v[11:14], v10 offset1:12
	v_mul_f32_e32 v34, v32, v17
	v_fma_f32 v32, v32, v16, -v9
	v_mul_lo_u32 v15, v1, v15
	v_fmac_f32_e32 v34, v33, v16
	s_waitcnt lgkmcnt(1)
	v_mul_f32_e32 v9, v27, v19
	v_mul_f32_e32 v33, v26, v19
	s_waitcnt vmcnt(7)
	v_mul_f32_e32 v16, v23, v25
	v_mul_f32_e32 v23, v23, v24
	v_bfe_u32 v17, v15, 8, 8
	v_fma_f32 v26, v26, v18, -v9
	ds_read_b64 v[9:10], v10 offset:16896
	v_fma_f32 v24, v22, v24, -v16
	v_fmac_f32_e32 v23, v22, v25
	v_fmac_f32_e32 v33, v27, v18
	s_waitcnt lgkmcnt(1)
	v_mul_f32_e32 v16, v21, v14
	v_mul_f32_e32 v25, v21, v13
	v_mul_lo_u32 v18, v1, v54
	s_waitcnt vmcnt(0)
	v_mul_f32_e32 v21, v51, v53
	v_sub_f32_e32 v8, v11, v31
	v_fma_f32 v27, v20, v13, -v16
	v_add_nc_u32_e32 v13, 24, v54
	v_fmac_f32_e32 v25, v20, v14
	v_lshlrev_b32_sdwa v14, v56, v15 dst_sel:DWORD dst_unused:UNUSED_PAD src0_sel:DWORD src1_sel:BYTE_0
	v_lshl_or_b32 v16, v17, 3, 0x800
	v_lshlrev_b32_sdwa v17, v56, v18 dst_sel:DWORD dst_unused:UNUSED_PAD src0_sel:DWORD src1_sel:BYTE_0
	v_mul_lo_u32 v19, v1, v13
	v_bfe_u32 v18, v18, 8, 8
	v_mul_lo_u32 v31, s12, v4
	v_fma_f32 v11, v11, 2.0, -v8
	s_waitcnt lgkmcnt(0)
	v_mul_f32_e32 v15, v10, v41
	v_mul_f32_e32 v35, v9, v41
	v_lshl_or_b32 v18, v18, 3, 0x800
	v_bfe_u32 v20, v19, 8, 8
	v_lshlrev_b32_sdwa v19, v56, v19 dst_sel:DWORD dst_unused:UNUSED_PAD src0_sel:DWORD src1_sel:BYTE_0
	v_fma_f32 v41, v9, v40, -v15
	v_mul_f32_e32 v15, v43, v45
	v_fmac_f32_e32 v35, v10, v40
	s_clause 0x1
	global_load_dwordx2 v[9:10], v14, s[0:1]
	global_load_dwordx2 v[13:14], v16, s[0:1]
	v_mul_f32_e32 v40, v42, v45
	v_lshl_or_b32 v22, v20, 3, 0x800
	v_fma_f32 v42, v42, v44, -v15
	v_mul_f32_e32 v15, v47, v49
	v_mul_f32_e32 v45, v50, v53
	v_fmac_f32_e32 v40, v43, v44
	v_mul_f32_e32 v43, v46, v49
	v_add_lshl_u32 v31, v3, v31, 3
	v_fma_f32 v44, v46, v48, -v15
	s_clause 0x1
	global_load_dwordx2 v[15:16], v17, s[0:1]
	global_load_dwordx2 v[17:18], v18, s[0:1]
	v_fma_f32 v46, v50, v52, -v21
	s_clause 0x1
	global_load_dwordx2 v[19:20], v19, s[0:1]
	global_load_dwordx2 v[21:22], v22, s[0:1]
	v_fmac_f32_e32 v43, v47, v48
	v_add_nc_u32_e32 v47, 48, v54
	v_add_nc_u32_e32 v48, 0x48, v54
	v_fmac_f32_e32 v45, v51, v52
	v_cndmask_b32_e32 v31, -1, v31, vcc_lo
	v_mul_lo_u32 v47, v1, v47
	v_mul_lo_u32 v48, v1, v48
	s_waitcnt vmcnt(4)
	v_mul_f32_e32 v49, v10, v14
	v_mul_f32_e32 v50, v9, v14
	v_fma_f32 v49, v9, v13, -v49
	v_bfe_u32 v9, v47, 8, 8
	v_fmac_f32_e32 v50, v10, v13
	v_lshlrev_b32_sdwa v13, v56, v47 dst_sel:DWORD dst_unused:UNUSED_PAD src0_sel:DWORD src1_sel:BYTE_0
	s_waitcnt vmcnt(2)
	v_mul_f32_e32 v10, v16, v18
	v_mul_f32_e32 v51, v15, v18
	v_bfe_u32 v18, v48, 8, 8
	v_lshl_or_b32 v14, v9, 3, 0x800
	v_fma_f32 v47, v15, v17, -v10
	v_fmac_f32_e32 v51, v16, v17
	s_waitcnt vmcnt(0)
	v_mul_f32_e32 v15, v20, v22
	s_clause 0x1
	global_load_dwordx2 v[9:10], v13, s[0:1]
	global_load_dwordx2 v[13:14], v14, s[0:1]
	v_lshlrev_b32_sdwa v16, v56, v48 dst_sel:DWORD dst_unused:UNUSED_PAD src0_sel:DWORD src1_sel:BYTE_0
	v_lshl_or_b32 v17, v18, 3, 0x800
	v_mul_f32_e32 v22, v19, v22
	v_fma_f32 v48, v19, v21, -v15
	s_clause 0x1
	global_load_dwordx2 v[15:16], v16, s[0:1]
	global_load_dwordx2 v[17:18], v17, s[0:1]
	v_fmac_f32_e32 v22, v20, v21
	s_waitcnt vmcnt(2)
	v_mul_f32_e32 v19, v10, v14
	v_mul_f32_e32 v20, v9, v14
	v_fma_f32 v52, v9, v13, -v19
	v_fmac_f32_e32 v20, v10, v13
	v_mul_lo_u32 v9, v1, v55
	s_waitcnt vmcnt(0)
	v_mul_f32_e32 v10, v16, v18
	v_add_nc_u32_e32 v13, 24, v55
	v_mul_f32_e32 v19, v15, v18
	v_fma_f32 v21, v15, v17, -v10
	v_mul_lo_u32 v15, v1, v13
	v_bfe_u32 v10, v9, 8, 8
	v_lshlrev_b32_sdwa v9, v56, v9 dst_sel:DWORD dst_unused:UNUSED_PAD src0_sel:DWORD src1_sel:BYTE_0
	v_fmac_f32_e32 v19, v16, v17
	v_lshl_or_b32 v13, v10, 3, 0x800
	s_clause 0x1
	global_load_dwordx2 v[9:10], v9, s[0:1]
	global_load_dwordx2 v[13:14], v13, s[0:1]
	v_bfe_u32 v16, v15, 8, 8
	v_lshlrev_b32_sdwa v15, v56, v15 dst_sel:DWORD dst_unused:UNUSED_PAD src0_sel:DWORD src1_sel:BYTE_0
	v_lshl_or_b32 v17, v16, 3, 0x800
	s_clause 0x1
	global_load_dwordx2 v[15:16], v15, s[0:1]
	global_load_dwordx2 v[17:18], v17, s[0:1]
	s_waitcnt vmcnt(2)
	v_mul_f32_e32 v53, v10, v14
	v_mul_f32_e32 v54, v9, v14
	v_fma_f32 v53, v9, v13, -v53
	v_fmac_f32_e32 v54, v10, v13
	v_add_nc_u32_e32 v10, 0x48, v55
	s_waitcnt vmcnt(0)
	v_mul_f32_e32 v9, v16, v18
	v_mul_f32_e32 v60, v15, v18
	v_fma_f32 v59, v15, v17, -v9
	v_add_nc_u32_e32 v9, 48, v55
	v_fmac_f32_e32 v60, v16, v17
	v_mul_lo_u32 v9, v1, v9
	v_mul_lo_u32 v1, v1, v10
	v_bfe_u32 v13, v9, 8, 8
	v_lshlrev_b32_sdwa v9, v56, v9 dst_sel:DWORD dst_unused:UNUSED_PAD src0_sel:DWORD src1_sel:BYTE_0
	v_lshlrev_b32_sdwa v15, v56, v1 dst_sel:DWORD dst_unused:UNUSED_PAD src0_sel:DWORD src1_sel:BYTE_0
	v_bfe_u32 v1, v1, 8, 8
	v_add_nc_u32_e32 v56, 48, v4
	v_lshl_or_b32 v13, v13, 3, 0x800
	s_clause 0x1
	global_load_dwordx2 v[9:10], v9, s[0:1]
	global_load_dwordx2 v[13:14], v13, s[0:1]
	v_lshl_or_b32 v1, v1, 3, 0x800
	s_clause 0x1
	global_load_dwordx2 v[15:16], v15, s[0:1]
	global_load_dwordx2 v[17:18], v1, s[0:1]
	v_cmp_lt_u32_e64 s0, 0x23f, v0
	v_cndmask_b32_e64 v0, 0, 0x60, s0
	v_or_b32_e32 v0, v7, v0
	v_add_nc_u32_e32 v7, 24, v0
	v_mul_lo_u32 v7, s12, v7
	v_add_lshl_u32 v7, v3, v7, 3
	s_waitcnt vmcnt(2)
	v_mul_f32_e32 v1, v10, v14
	v_mul_f32_e32 v14, v9, v14
	v_fma_f32 v55, v9, v13, -v1
	s_waitcnt vmcnt(0)
	v_mul_f32_e32 v1, v16, v18
	v_fmac_f32_e32 v14, v10, v13
	v_add_nc_u32_e32 v13, 48, v0
	v_mul_f32_e32 v9, v15, v18
	v_add_nc_u32_e32 v18, 24, v2
	v_fma_f32 v10, v15, v17, -v1
	v_mul_lo_u32 v1, s12, v0
	v_add_nc_u32_e32 v0, 0x48, v0
	v_sub_f32_e32 v15, v12, v58
	v_fmac_f32_e32 v9, v16, v17
	v_sub_f32_e32 v16, v28, v26
	v_sub_f32_e32 v17, v29, v33
	v_mul_lo_u32 v0, s12, v0
	v_add_nc_u32_e32 v26, 48, v2
	v_add_lshl_u32 v6, v3, v1, 3
	v_mul_lo_u32 v1, s12, v2
	v_add_nc_u32_e32 v33, 24, v4
	v_add_nc_u32_e32 v2, 0x48, v2
	v_add_nc_u32_e32 v4, 0x48, v4
	v_mul_lo_u32 v13, s12, v13
	v_add_lshl_u32 v58, v3, v0, 3
	v_mul_lo_u32 v0, s12, v18
	v_mul_lo_u32 v18, s12, v26
	;; [unrolled: 1-line block ×4, first 2 shown]
	v_add_lshl_u32 v56, v3, v1, 3
	v_mul_lo_u32 v2, s12, v2
	v_mul_lo_u32 v4, s12, v4
	v_add_lshl_u32 v13, v3, v13, 3
	v_add_lshl_u32 v61, v3, v0, 3
	ds_read_b64 v[0:1], v5
	v_add_lshl_u32 v18, v3, v18, 3
	v_add_lshl_u32 v26, v3, v26, 3
	;; [unrolled: 1-line block ×5, first 2 shown]
	v_fma_f32 v12, v12, 2.0, -v15
	v_fma_f32 v28, v28, 2.0, -v16
	v_cndmask_b32_e32 v62, -1, v13, vcc_lo
	v_cndmask_b32_e32 v64, -1, v2, vcc_lo
	v_sub_f32_e32 v2, v27, v36
	v_cndmask_b32_e32 v36, -1, v3, vcc_lo
	v_sub_f32_e32 v3, v32, v41
	v_cndmask_b32_e32 v63, -1, v18, vcc_lo
	v_fma_f32 v29, v29, 2.0, -v17
	v_fma_f32 v13, v27, 2.0, -v2
	v_cndmask_b32_e32 v58, -1, v58, vcc_lo
	v_cndmask_b32_e32 v56, -1, v56, vcc_lo
	;; [unrolled: 1-line block ×4, first 2 shown]
	s_waitcnt lgkmcnt(0)
	v_sub_f32_e32 v4, v0, v24
	v_sub_f32_e32 v5, v1, v23
	v_cndmask_b32_e32 v33, -1, v33, vcc_lo
	v_fma_f32 v23, v0, 2.0, -v4
	v_fma_f32 v24, v1, 2.0, -v5
	v_sub_f32_e32 v0, v30, v57
	v_sub_f32_e32 v1, v38, v37
	v_add_f32_e32 v37, v15, v0
	v_sub_f32_e32 v57, v8, v1
	v_fma_f32 v30, v30, 2.0, -v0
	v_fma_f32 v38, v38, 2.0, -v1
	v_mul_f32_e32 v0, v37, v50
	v_mul_f32_e32 v1, v57, v50
	v_cndmask_b32_e32 v50, -1, v6, vcc_lo
	v_sub_f32_e32 v6, v25, v39
	v_fma_f32 v8, v8, 2.0, -v57
	v_fma_f32 v0, v57, v49, -v0
	v_cndmask_b32_e32 v57, -1, v7, vcc_lo
	v_sub_f32_e32 v7, v34, v35
	v_fma_f32 v18, v25, 2.0, -v6
	v_add_f32_e32 v25, v5, v2
	v_fma_f32 v2, v32, 2.0, -v3
	v_sub_f32_e32 v6, v4, v6
	v_fma_f32 v27, v34, 2.0, -v7
	v_sub_f32_e32 v32, v16, v7
	v_add_f32_e32 v34, v17, v3
	v_sub_f32_e32 v30, v11, v30
	v_sub_f32_e32 v35, v12, v38
	v_fma_f32 v15, v15, 2.0, -v37
	v_sub_f32_e32 v65, v28, v2
	v_mul_f32_e32 v2, v25, v19
	v_sub_f32_e32 v38, v23, v13
	v_sub_f32_e32 v18, v24, v18
	v_fma_f32 v39, v4, 2.0, -v6
	v_fma_f32 v41, v5, 2.0, -v25
	v_fmac_f32_e32 v1, v37, v49
	v_sub_f32_e32 v27, v29, v27
	v_mul_f32_e32 v3, v6, v19
	v_fma_f32 v2, v6, v21, -v2
	v_mul_f32_e32 v4, v34, v9
	v_mul_f32_e32 v5, v32, v9
	v_fma_f32 v49, v11, 2.0, -v30
	v_fma_f32 v66, v12, 2.0, -v35
	v_mul_f32_e32 v6, v15, v43
	v_mul_f32_e32 v12, v35, v45
	v_fma_f32 v37, v17, 2.0, -v34
	v_fma_f32 v67, v23, 2.0, -v38
	;; [unrolled: 1-line block ×6, first 2 shown]
	v_mul_f32_e32 v7, v8, v43
	v_fma_f32 v4, v32, v10, -v4
	v_mul_f32_e32 v9, v30, v45
	v_fmac_f32_e32 v5, v34, v10
	v_mul_f32_e32 v10, v41, v22
	v_mul_f32_e32 v11, v39, v22
	v_fma_f32 v6, v8, v44, -v6
	v_mul_f32_e32 v22, v18, v20
	v_mul_f32_e32 v13, v38, v20
	v_fma_f32 v8, v30, v46, -v12
	v_mul_f32_e32 v30, v66, v40
	v_mul_f32_e32 v19, v49, v40
	v_fmac_f32_e32 v3, v25, v21
	v_mul_f32_e32 v20, v37, v60
	v_mul_f32_e32 v32, v24, v51
	;; [unrolled: 1-line block ×3, first 2 shown]
	v_fmac_f32_e32 v7, v15, v44
	v_mul_f32_e32 v15, v16, v60
	v_mul_f32_e32 v25, v27, v14
	;; [unrolled: 1-line block ×3, first 2 shown]
	v_fma_f32 v12, v38, v52, -v22
	v_fmac_f32_e32 v13, v18, v52
	v_mul_f32_e32 v22, v29, v54
	v_mul_f32_e32 v23, v28, v54
	v_fma_f32 v18, v49, v42, -v30
	v_fmac_f32_e32 v19, v66, v42
	v_fmac_f32_e32 v9, v35, v46
	v_fma_f32 v14, v16, v59, -v20
	v_fma_f32 v20, v67, v47, -v32
	v_fmac_f32_e32 v21, v24, v47
	v_fma_f32 v10, v39, v48, -v10
	v_fmac_f32_e32 v11, v41, v48
	v_fmac_f32_e32 v15, v37, v59
	v_fma_f32 v16, v65, v55, -v25
	v_fmac_f32_e32 v17, v27, v55
	v_fma_f32 v22, v28, v53, -v22
	v_fmac_f32_e32 v23, v29, v53
	buffer_store_dwordx2 v[18:19], v50, s[8:11], s2 offen
	buffer_store_dwordx2 v[6:7], v57, s[8:11], s2 offen
	;; [unrolled: 1-line block ×12, first 2 shown]
	s_endpgm
	.section	.rodata,"a",@progbits
	.p2align	6, 0x0
	.amdhsa_kernel fft_rtc_fwd_len96_factors_4_2_3_4_wgs_192_tpt_8_dim2_sp_ip_CI_sbcc_twdbase8_2step_dirReg_intrinsicReadWrite
		.amdhsa_group_segment_fixed_size 0
		.amdhsa_private_segment_fixed_size 0
		.amdhsa_kernarg_size 88
		.amdhsa_user_sgpr_count 6
		.amdhsa_user_sgpr_private_segment_buffer 1
		.amdhsa_user_sgpr_dispatch_ptr 0
		.amdhsa_user_sgpr_queue_ptr 0
		.amdhsa_user_sgpr_kernarg_segment_ptr 1
		.amdhsa_user_sgpr_dispatch_id 0
		.amdhsa_user_sgpr_flat_scratch_init 0
		.amdhsa_user_sgpr_private_segment_size 0
		.amdhsa_wavefront_size32 1
		.amdhsa_uses_dynamic_stack 0
		.amdhsa_system_sgpr_private_segment_wavefront_offset 0
		.amdhsa_system_sgpr_workgroup_id_x 1
		.amdhsa_system_sgpr_workgroup_id_y 0
		.amdhsa_system_sgpr_workgroup_id_z 0
		.amdhsa_system_sgpr_workgroup_info 0
		.amdhsa_system_vgpr_workitem_id 0
		.amdhsa_next_free_vgpr 68
		.amdhsa_next_free_sgpr 20
		.amdhsa_reserve_vcc 1
		.amdhsa_reserve_flat_scratch 0
		.amdhsa_float_round_mode_32 0
		.amdhsa_float_round_mode_16_64 0
		.amdhsa_float_denorm_mode_32 3
		.amdhsa_float_denorm_mode_16_64 3
		.amdhsa_dx10_clamp 1
		.amdhsa_ieee_mode 1
		.amdhsa_fp16_overflow 0
		.amdhsa_workgroup_processor_mode 1
		.amdhsa_memory_ordered 1
		.amdhsa_forward_progress 0
		.amdhsa_shared_vgpr_count 0
		.amdhsa_exception_fp_ieee_invalid_op 0
		.amdhsa_exception_fp_denorm_src 0
		.amdhsa_exception_fp_ieee_div_zero 0
		.amdhsa_exception_fp_ieee_overflow 0
		.amdhsa_exception_fp_ieee_underflow 0
		.amdhsa_exception_fp_ieee_inexact 0
		.amdhsa_exception_int_div_zero 0
	.end_amdhsa_kernel
	.text
.Lfunc_end0:
	.size	fft_rtc_fwd_len96_factors_4_2_3_4_wgs_192_tpt_8_dim2_sp_ip_CI_sbcc_twdbase8_2step_dirReg_intrinsicReadWrite, .Lfunc_end0-fft_rtc_fwd_len96_factors_4_2_3_4_wgs_192_tpt_8_dim2_sp_ip_CI_sbcc_twdbase8_2step_dirReg_intrinsicReadWrite
                                        ; -- End function
	.section	.AMDGPU.csdata,"",@progbits
; Kernel info:
; codeLenInByte = 5424
; NumSgprs: 22
; NumVgprs: 68
; ScratchSize: 0
; MemoryBound: 0
; FloatMode: 240
; IeeeMode: 1
; LDSByteSize: 0 bytes/workgroup (compile time only)
; SGPRBlocks: 2
; VGPRBlocks: 8
; NumSGPRsForWavesPerEU: 22
; NumVGPRsForWavesPerEU: 68
; Occupancy: 12
; WaveLimiterHint : 0
; COMPUTE_PGM_RSRC2:SCRATCH_EN: 0
; COMPUTE_PGM_RSRC2:USER_SGPR: 6
; COMPUTE_PGM_RSRC2:TRAP_HANDLER: 0
; COMPUTE_PGM_RSRC2:TGID_X_EN: 1
; COMPUTE_PGM_RSRC2:TGID_Y_EN: 0
; COMPUTE_PGM_RSRC2:TGID_Z_EN: 0
; COMPUTE_PGM_RSRC2:TIDIG_COMP_CNT: 0
	.text
	.p2alignl 6, 3214868480
	.fill 48, 4, 3214868480
	.type	__hip_cuid_4b30cc40db5dadc9,@object ; @__hip_cuid_4b30cc40db5dadc9
	.section	.bss,"aw",@nobits
	.globl	__hip_cuid_4b30cc40db5dadc9
__hip_cuid_4b30cc40db5dadc9:
	.byte	0                               ; 0x0
	.size	__hip_cuid_4b30cc40db5dadc9, 1

	.ident	"AMD clang version 19.0.0git (https://github.com/RadeonOpenCompute/llvm-project roc-6.4.0 25133 c7fe45cf4b819c5991fe208aaa96edf142730f1d)"
	.section	".note.GNU-stack","",@progbits
	.addrsig
	.addrsig_sym __hip_cuid_4b30cc40db5dadc9
	.amdgpu_metadata
---
amdhsa.kernels:
  - .args:
      - .actual_access:  read_only
        .address_space:  global
        .offset:         0
        .size:           8
        .value_kind:     global_buffer
      - .address_space:  global
        .offset:         8
        .size:           8
        .value_kind:     global_buffer
      - .actual_access:  read_only
        .address_space:  global
        .offset:         16
        .size:           8
        .value_kind:     global_buffer
      - .actual_access:  read_only
        .address_space:  global
        .offset:         24
        .size:           8
        .value_kind:     global_buffer
      - .offset:         32
        .size:           8
        .value_kind:     by_value
      - .actual_access:  read_only
        .address_space:  global
        .offset:         40
        .size:           8
        .value_kind:     global_buffer
      - .actual_access:  read_only
        .address_space:  global
        .offset:         48
        .size:           8
        .value_kind:     global_buffer
      - .offset:         56
        .size:           4
        .value_kind:     by_value
      - .actual_access:  read_only
        .address_space:  global
        .offset:         64
        .size:           8
        .value_kind:     global_buffer
      - .actual_access:  read_only
        .address_space:  global
        .offset:         72
        .size:           8
        .value_kind:     global_buffer
      - .address_space:  global
        .offset:         80
        .size:           8
        .value_kind:     global_buffer
    .group_segment_fixed_size: 0
    .kernarg_segment_align: 8
    .kernarg_segment_size: 88
    .language:       OpenCL C
    .language_version:
      - 2
      - 0
    .max_flat_workgroup_size: 192
    .name:           fft_rtc_fwd_len96_factors_4_2_3_4_wgs_192_tpt_8_dim2_sp_ip_CI_sbcc_twdbase8_2step_dirReg_intrinsicReadWrite
    .private_segment_fixed_size: 0
    .sgpr_count:     22
    .sgpr_spill_count: 0
    .symbol:         fft_rtc_fwd_len96_factors_4_2_3_4_wgs_192_tpt_8_dim2_sp_ip_CI_sbcc_twdbase8_2step_dirReg_intrinsicReadWrite.kd
    .uniform_work_group_size: 1
    .uses_dynamic_stack: false
    .vgpr_count:     68
    .vgpr_spill_count: 0
    .wavefront_size: 32
    .workgroup_processor_mode: 1
amdhsa.target:   amdgcn-amd-amdhsa--gfx1030
amdhsa.version:
  - 1
  - 2
...

	.end_amdgpu_metadata
